;; amdgpu-corpus repo=zjin-lcf/HeCBench kind=compiled arch=gfx1201 opt=O3
	.amdgcn_target "amdgcn-amd-amdhsa--gfx1201"
	.amdhsa_code_object_version 6
	.text
	.protected	_Z11postprocessPKfPfS0_S0_S0_S1_S1_Piffffiiiiiff ; -- Begin function _Z11postprocessPKfPfS0_S0_S0_S1_S1_Piffffiiiiiff
	.globl	_Z11postprocessPKfPfS0_S0_S0_S1_S1_Piffffiiiiiff
	.p2align	8
	.type	_Z11postprocessPKfPfS0_S0_S0_S1_S1_Piffffiiiiiff,@function
_Z11postprocessPKfPfS0_S0_S0_S1_S1_Piffffiiiiiff: ; @_Z11postprocessPKfPfS0_S0_S0_S1_S1_Piffffiiiiiff
; %bb.0:
	s_load_b256 s[12:19], s[0:1], 0x40
	s_mov_b32 s2, exec_lo
	s_wait_kmcnt 0x0
	v_cmpx_gt_i32_e64 s18, v0
	s_cbranch_execz .LBB0_9
; %bb.1:
	v_mad_co_u64_u32 v[1:2], null, s18, ttmp9, v[0:1]
	s_load_b256 s[20:27], s[0:1], 0x0
	s_abs_i32 s18, s16
	s_mov_b32 s3, 0
	s_wait_alu 0xfffe
	s_cvt_f32_u32 s2, s18
	v_mul_lo_u32 v2, v1, s19
	s_delay_alu instid0(SALU_CYCLE_2) | instskip(NEXT) | instid1(VALU_DEP_1)
	v_rcp_iflag_f32_e32 v8, s2
	v_ashrrev_i32_e32 v3, 31, v2
	s_delay_alu instid0(TRANS32_DEP_1) | instskip(NEXT) | instid1(VALU_DEP_2)
	v_readfirstlane_b32 s2, v8
	v_lshlrev_b64_e32 v[2:3], 2, v[2:3]
	s_wait_kmcnt 0x0
	s_delay_alu instid0(VALU_DEP_1) | instskip(NEXT) | instid1(VALU_DEP_1)
	v_add_co_u32 v4, vcc_lo, s20, v2
	v_add_co_ci_u32_e64 v5, null, s21, v3, vcc_lo
	s_mov_b32 s21, s3
	global_load_b32 v2, v[4:5], off
	s_clause 0x1
	s_load_b256 s[4:11], s[0:1], 0x20
	s_load_b96 s[28:30], s[0:1], 0x60
	s_mul_f32 s0, s2, 0x4f7ffffe
	s_sub_co_i32 s1, 0, s18
	s_wait_alu 0xfffe
	s_abs_i32 s2, ttmp9
	s_cvt_u32_f32 s0, s0
	s_wait_alu 0xfffe
	s_delay_alu instid0(SALU_CYCLE_2)
	s_mul_i32 s1, s1, s0
	s_wait_alu 0xfffe
	s_mul_hi_u32 s1, s0, s1
	s_wait_alu 0xfffe
	s_add_co_i32 s20, s0, s1
	s_cmp_lt_i32 s19, 2
	s_wait_loadcnt 0x0
	v_mul_f32_e32 v3, 0xbfb8aa3b, v2
	v_cmp_nlt_f32_e32 vcc_lo, 0x42ce8ed0, v2
	s_delay_alu instid0(VALU_DEP_2) | instskip(SKIP_1) | instid1(VALU_DEP_1)
	v_fma_f32 v6, 0xbfb8aa3b, v2, -v3
	v_rndne_f32_e32 v7, v3
	v_dual_fmac_f32 v6, 0xb2a5705f, v2 :: v_dual_sub_f32 v3, v3, v7
	s_delay_alu instid0(VALU_DEP_1) | instskip(SKIP_1) | instid1(VALU_DEP_2)
	v_add_f32_e32 v3, v3, v6
	v_cvt_i32_f32_e32 v6, v7
	v_exp_f32_e32 v3, v3
	s_delay_alu instid0(TRANS32_DEP_1) | instskip(SKIP_1) | instid1(VALU_DEP_1)
	v_ldexp_f32 v3, v3, v6
	s_wait_alu 0xfffd
	v_cndmask_b32_e32 v3, 0, v3, vcc_lo
	v_cmp_ngt_f32_e32 vcc_lo, 0xc2b17218, v2
	s_wait_alu 0xfffd
	s_delay_alu instid0(VALU_DEP_2) | instskip(NEXT) | instid1(VALU_DEP_1)
	v_cndmask_b32_e32 v2, 0x7f800000, v3, vcc_lo
	v_add_f32_e32 v2, 1.0, v2
	s_delay_alu instid0(VALU_DEP_1) | instskip(NEXT) | instid1(VALU_DEP_1)
	v_div_scale_f32 v3, null, v2, v2, 1.0
	v_rcp_f32_e32 v6, v3
	s_delay_alu instid0(TRANS32_DEP_1) | instskip(NEXT) | instid1(VALU_DEP_1)
	v_fma_f32 v7, -v3, v6, 1.0
	v_fmac_f32_e32 v6, v7, v6
	v_div_scale_f32 v7, vcc_lo, 1.0, v2, 1.0
	s_delay_alu instid0(VALU_DEP_1) | instskip(NEXT) | instid1(VALU_DEP_1)
	v_mul_f32_e32 v9, v7, v6
	v_fma_f32 v10, -v3, v9, v7
	s_delay_alu instid0(VALU_DEP_1) | instskip(NEXT) | instid1(VALU_DEP_1)
	v_fmac_f32_e32 v9, v10, v6
	v_fma_f32 v3, -v3, v9, v7
	s_wait_alu 0xfffd
	s_delay_alu instid0(VALU_DEP_1) | instskip(SKIP_1) | instid1(VALU_DEP_2)
	v_div_fmas_f32 v6, v3, v6, v9
	v_mov_b32_e32 v3, 0
	v_div_fixup_f32 v11, v6, v2, 1.0
	s_cbranch_scc1 .LBB0_5
; %bb.2:
	v_add_co_u32 v2, vcc_lo, v4, 4
	s_wait_alu 0xfffd
	v_add_co_ci_u32_e64 v3, null, 0, v5, vcc_lo
	v_mov_b32_e32 v4, 0
	s_mov_b32 s1, 1
.LBB0_3:                                ; =>This Inner Loop Header: Depth=1
	global_load_b32 v5, v[2:3], off
	s_wait_loadcnt 0x0
	v_mul_f32_e32 v6, 0xbfb8aa3b, v5
	v_cmp_nlt_f32_e32 vcc_lo, 0x42ce8ed0, v5
	s_delay_alu instid0(VALU_DEP_2) | instskip(SKIP_1) | instid1(VALU_DEP_2)
	v_rndne_f32_e32 v7, v6
	v_fma_f32 v8, 0xbfb8aa3b, v5, -v6
	v_sub_f32_e32 v6, v6, v7
	s_delay_alu instid0(VALU_DEP_2) | instskip(SKIP_1) | instid1(VALU_DEP_2)
	v_fmac_f32_e32 v8, 0xb2a5705f, v5
	v_cvt_i32_f32_e32 v7, v7
	v_add_f32_e32 v6, v6, v8
	s_delay_alu instid0(VALU_DEP_1) | instskip(NEXT) | instid1(TRANS32_DEP_1)
	v_exp_f32_e32 v6, v6
	v_ldexp_f32 v6, v6, v7
	s_wait_alu 0xfffd
	s_delay_alu instid0(VALU_DEP_1) | instskip(SKIP_2) | instid1(VALU_DEP_2)
	v_cndmask_b32_e32 v6, 0, v6, vcc_lo
	v_cmp_ngt_f32_e32 vcc_lo, 0xc2b17218, v5
	s_wait_alu 0xfffd
	v_cndmask_b32_e32 v5, 0x7f800000, v6, vcc_lo
	s_delay_alu instid0(VALU_DEP_1) | instskip(NEXT) | instid1(VALU_DEP_1)
	v_add_f32_e32 v5, 1.0, v5
	v_div_scale_f32 v6, null, v5, v5, 1.0
	v_div_scale_f32 v9, vcc_lo, 1.0, v5, 1.0
	s_delay_alu instid0(VALU_DEP_2) | instskip(NEXT) | instid1(TRANS32_DEP_1)
	v_rcp_f32_e32 v7, v6
	v_fma_f32 v8, -v6, v7, 1.0
	s_delay_alu instid0(VALU_DEP_1) | instskip(NEXT) | instid1(VALU_DEP_1)
	v_fmac_f32_e32 v7, v8, v7
	v_mul_f32_e32 v8, v9, v7
	s_delay_alu instid0(VALU_DEP_1) | instskip(NEXT) | instid1(VALU_DEP_1)
	v_fma_f32 v10, -v6, v8, v9
	v_fmac_f32_e32 v8, v10, v7
	s_delay_alu instid0(VALU_DEP_1) | instskip(SKIP_1) | instid1(VALU_DEP_1)
	v_fma_f32 v6, -v6, v8, v9
	s_wait_alu 0xfffd
	v_div_fmas_f32 v6, v6, v7, v8
	v_add_co_u32 v2, vcc_lo, v2, 4
	s_wait_alu 0xfffd
	v_add_co_ci_u32_e64 v3, null, 0, v3, vcc_lo
	s_delay_alu instid0(VALU_DEP_3) | instskip(NEXT) | instid1(VALU_DEP_1)
	v_div_fixup_f32 v5, v6, v5, 1.0
	v_cmp_gt_f32_e64 s0, v5, v11
	s_wait_alu 0xf1fe
	s_delay_alu instid0(VALU_DEP_1)
	v_cndmask_b32_e64 v4, v4, s1, s0
	v_cndmask_b32_e64 v11, v11, v5, s0
	s_add_co_i32 s1, s1, 1
	s_wait_alu 0xfffe
	s_cmp_eq_u32 s19, s1
	s_cbranch_scc0 .LBB0_3
; %bb.4:
	v_cvt_f32_u32_e32 v3, v4
.LBB0_5:
	s_wait_kmcnt 0x0
	s_delay_alu instid0(VALU_DEP_1)
	v_cmp_le_f32_e32 vcc_lo, s29, v11
	s_wait_alu 0xfffe
	s_mul_u64 s[0:1], s[2:3], s[20:21]
	s_wait_alu 0xfffe
	s_ashr_i32 s0, ttmp9, 31
	s_ashr_i32 s19, s16, 31
	s_and_b32 exec_lo, exec_lo, vcc_lo
	s_cbranch_execz .LBB0_9
; %bb.6:
	v_mul_lo_u32 v8, v1, s28
	v_lshlrev_b32_e32 v2, 4, v0
	v_lshlrev_b32_e32 v0, 1, v0
	s_wait_alu 0xfffe
	s_xor_b32 s0, s0, s19
	s_mov_b32 s3, exec_lo
	global_load_b128 v[13:16], v2, s[26:27]
	v_and_b32_e32 v0, 0x7fc, v0
	v_ashrrev_i32_e32 v9, 31, v8
	s_delay_alu instid0(VALU_DEP_1) | instskip(NEXT) | instid1(VALU_DEP_1)
	v_lshlrev_b64_e32 v[4:5], 2, v[8:9]
	v_add_co_u32 v24, vcc_lo, s22, v4
	s_wait_alu 0xfffd
	s_delay_alu instid0(VALU_DEP_2)
	v_add_co_ci_u32_e64 v25, null, s23, v5, vcc_lo
	global_load_b32 v6, v0, s[4:5]
	s_clause 0x1
	global_load_b128 v[17:20], v[24:25], off
	global_load_b96 v[21:23], v[24:25], off offset:16
	v_lshlrev_b32_e32 v0, 1, v1
	s_mul_i32 s4, s1, s18
	s_delay_alu instid0(SALU_CYCLE_1) | instskip(SKIP_1) | instid1(VALU_DEP_1)
	s_sub_co_i32 s2, s2, s4
	s_add_co_i32 s4, s1, 1
	v_ashrrev_i32_e32 v1, 31, v0
	s_wait_alu 0xfffe
	s_sub_co_i32 s5, s2, s18
	s_cmp_ge_u32 s2, s18
	s_cselect_b32 s1, s4, s1
	v_lshlrev_b64_e32 v[0:1], 2, v[0:1]
	s_cselect_b32 s2, s5, s2
	s_wait_alu 0xfffe
	s_add_co_i32 s4, s1, 1
	s_cmp_ge_u32 s2, s18
	s_cselect_b32 s1, s4, s1
	v_add_co_u32 v0, vcc_lo, s24, v0
	s_wait_alu 0xfffd
	v_add_co_ci_u32_e64 v1, null, s25, v1, vcc_lo
	s_wait_alu 0xfffe
	s_xor_b32 s1, s1, s0
	s_sub_f32 s4, s15, s14
	s_wait_alu 0xfffe
	s_sub_co_i32 s0, s1, s0
	global_load_b64 v[9:10], v[0:1], off
	s_wait_alu 0xfffe
	s_mul_i32 s2, s0, s16
	s_sub_f32 s1, s13, s12
	s_wait_alu 0xfffe
	s_sub_co_i32 s2, ttmp9, s2
	s_cvt_f32_i32 s0, s0
	s_wait_alu 0xfffe
	s_cvt_f32_i32 s2, s2
	s_add_co_i32 s5, s16, -1
	s_add_co_i32 s13, s17, -1
	s_cvt_f32_i32 s5, s5
	s_wait_alu 0xfffe
	s_mul_f32 s1, s1, s2
	s_cvt_f32_i32 s2, s13
	s_mul_f32 s4, s4, s0
	s_wait_alu 0xfffe
	v_div_scale_f32 v0, null, s5, s5, s1
	s_delay_alu instid0(SALU_CYCLE_1) | instskip(SKIP_1) | instid1(VALU_DEP_3)
	v_div_scale_f32 v1, null, s2, s2, s4
	v_div_scale_f32 v12, vcc_lo, s1, s5, s1
	v_rcp_f32_e32 v2, v0
	s_delay_alu instid0(VALU_DEP_2)
	v_rcp_f32_e32 v4, v1
	v_xor_b32_e32 v0, 0x80000000, v0
	v_xor_b32_e32 v1, 0x80000000, v1
	s_delay_alu instid0(TRANS32_DEP_2) | instid1(VALU_DEP_2)
	v_fma_f32 v5, v0, v2, 1.0
	s_delay_alu instid0(TRANS32_DEP_1) | instid1(VALU_DEP_2)
	v_fma_f32 v7, v1, v4, 1.0
	s_delay_alu instid0(VALU_DEP_2) | instskip(SKIP_1) | instid1(VALU_DEP_2)
	v_fmac_f32_e32 v2, v5, v2
	v_div_scale_f32 v5, s0, s4, s2, s4
	v_dual_fmac_f32 v4, v7, v4 :: v_dual_mul_f32 v7, v12, v2
	s_delay_alu instid0(VALU_DEP_1) | instskip(NEXT) | instid1(VALU_DEP_2)
	v_mul_f32_e32 v26, v5, v4
	v_fma_f32 v27, v0, v7, v12
	s_delay_alu instid0(VALU_DEP_2) | instskip(NEXT) | instid1(VALU_DEP_1)
	v_fma_f32 v28, v1, v26, v5
	v_dual_fmac_f32 v7, v27, v2 :: v_dual_fmac_f32 v26, v28, v4
	s_delay_alu instid0(VALU_DEP_1) | instskip(SKIP_1) | instid1(VALU_DEP_1)
	v_dual_fmac_f32 v12, v0, v7 :: v_dual_fmac_f32 v5, v1, v26
	s_wait_alu 0xfffd
	v_div_fmas_f32 v0, v12, v2, v7
	s_mov_b32 vcc_lo, s0
	v_mbcnt_lo_u32_b32 v12, s3, 0
	s_delay_alu instid0(VALU_DEP_2) | instskip(SKIP_2) | instid1(VALU_DEP_1)
	v_div_fixup_f32 v0, v0, s5, s1
	s_wait_loadcnt 0x4
	v_mul_f32_e32 v1, v14, v14
	v_fmac_f32_e32 v1, v13, v13
	s_wait_alu 0xfffe
	v_div_fmas_f32 v2, v5, v4, v26
	s_delay_alu instid0(VALU_DEP_2) | instskip(SKIP_1) | instid1(VALU_DEP_3)
	v_dual_add_f32 v4, s12, v0 :: v_dual_mul_f32 v7, 0x4f800000, v1
	v_cmp_gt_f32_e32 vcc_lo, 0xf800000, v1
	v_div_fixup_f32 v2, v2, s2, s4
	s_wait_alu 0xfffd
	s_delay_alu instid0(VALU_DEP_1) | instskip(SKIP_4) | instid1(VALU_DEP_2)
	v_dual_cndmask_b32 v0, v1, v7 :: v_dual_add_f32 v5, s14, v2
	s_wait_loadcnt 0x2
	v_mul_f32_e32 v1, 0x3fb8aa3b, v20
	s_wait_loadcnt 0x1
	v_mul_f32_e32 v7, 0x3fb8aa3b, v22
	v_fma_f32 v26, 0x3fb8aa3b, v20, -v1
	v_rndne_f32_e32 v27, v1
	s_delay_alu instid0(VALU_DEP_3) | instskip(SKIP_2) | instid1(VALU_DEP_4)
	v_fma_f32 v30, 0x3fb8aa3b, v22, -v7
	v_rndne_f32_e32 v31, v7
	v_mul_f32_e32 v2, 0x3fb8aa3b, v21
	v_dual_fmac_f32 v26, 0x32a5705f, v20 :: v_dual_sub_f32 v1, v1, v27
	v_fmac_f32_e32 v6, 0.5, v15
	s_delay_alu instid0(VALU_DEP_4) | instskip(NEXT) | instid1(VALU_DEP_4)
	v_dual_fmac_f32 v30, 0x32a5705f, v22 :: v_dual_sub_f32 v7, v7, v31
	v_fma_f32 v28, 0x3fb8aa3b, v21, -v2
	s_delay_alu instid0(VALU_DEP_3) | instskip(SKIP_1) | instid1(VALU_DEP_4)
	v_dual_add_f32 v1, v1, v26 :: v_dual_fmac_f32 v6, v15, v19
	v_rndne_f32_e32 v29, v2
	v_add_f32_e32 v7, v7, v30
	v_sqrt_f32_e32 v19, v0
	v_fmac_f32_e32 v28, 0x32a5705f, v21
	v_exp_f32_e32 v1, v1
	v_sub_f32_e32 v2, v2, v29
	v_exp_f32_e32 v7, v7
	s_delay_alu instid0(VALU_DEP_1) | instskip(NEXT) | instid1(TRANS32_DEP_3)
	v_add_f32_e32 v2, v2, v28
	v_add_nc_u32_e32 v32, -1, v19
	v_add_nc_u32_e32 v33, 1, v19
	s_delay_alu instid0(VALU_DEP_3) | instskip(NEXT) | instid1(VALU_DEP_2)
	v_exp_f32_e32 v30, v2
	v_fma_f32 v26, -v32, v19, v0
	s_delay_alu instid0(VALU_DEP_2) | instskip(NEXT) | instid1(VALU_DEP_2)
	v_fma_f32 v28, -v33, v19, v0
	v_cmp_ge_f32_e64 s0, 0, v26
	v_cvt_i32_f32_e32 v26, v29
	s_wait_alu 0xf1ff
	s_delay_alu instid0(VALU_DEP_2) | instskip(SKIP_4) | instid1(VALU_DEP_3)
	v_cndmask_b32_e64 v2, v19, v32, s0
	v_cmp_lt_f32_e64 s0, 0, v28
	v_cvt_i32_f32_e32 v19, v27
	v_cvt_i32_f32_e32 v27, v31
	s_wait_alu 0xf1ff
	v_cndmask_b32_e64 v28, v2, v33, s0
	s_delay_alu instid0(VALU_DEP_3)
	v_ldexp_f32 v1, v1, v19
	v_cmp_ngt_f32_e64 s0, 0xc2ce8ed0, v20
	v_add_f32_e32 v2, v16, v23
	v_ldexp_f32 v16, v30, v26
	v_mul_f32_e32 v19, 0x37800000, v28
	v_ldexp_f32 v7, v7, v27
	s_wait_alu 0xf1ff
	v_cndmask_b32_e64 v1, 0, v1, s0
	v_cmp_ngt_f32_e64 s0, 0xc2ce8ed0, v21
	v_cndmask_b32_e32 v19, v28, v19, vcc_lo
	v_cmp_nlt_f32_e32 vcc_lo, 0x42b17218, v20
	s_wait_alu 0xf1ff
	s_delay_alu instid0(VALU_DEP_3)
	v_cndmask_b32_e64 v16, 0, v16, s0
	v_cmp_ngt_f32_e64 s0, 0xc2ce8ed0, v22
	s_wait_alu 0xfffd
	v_cndmask_b32_e32 v1, 0x7f800000, v1, vcc_lo
	v_cmp_nlt_f32_e32 vcc_lo, 0x42b17218, v21
	s_wait_alu 0xf1ff
	v_cndmask_b32_e64 v7, 0, v7, s0
	s_mov_b32 s0, exec_lo
	s_wait_alu 0xfffd
	v_cndmask_b32_e32 v16, 0x7f800000, v16, vcc_lo
	v_cmp_class_f32_e64 vcc_lo, v0, 0x260
	s_wait_alu 0xfffd
	v_cndmask_b32_e32 v19, v19, v0, vcc_lo
	v_cmp_nlt_f32_e32 vcc_lo, 0x42b17218, v22
	v_mul_f32_e32 v0, v14, v16
	s_delay_alu instid0(VALU_DEP_3) | instskip(SKIP_3) | instid1(VALU_DEP_2)
	v_fmac_f32_e32 v4, v17, v19
	s_wait_alu 0xfffd
	v_dual_cndmask_b32 v20, 0x7f800000, v7 :: v_dual_mul_f32 v7, v13, v1
	v_fmac_f32_e32 v5, v19, v18
                                        ; implicit-def: $vgpr13
	v_mul_f32_e32 v1, v15, v20
	s_clause 0x1
	global_store_b128 v[24:25], v[4:7], off
	global_store_b96 v[24:25], v[0:2], off offset:16
	v_cmpx_eq_u32_e32 0, v12
	s_cbranch_execz .LBB0_8
; %bb.7:
	s_bcnt1_i32_b32 s1, s3
	s_wait_alu 0xfffe
	v_dual_mov_b32 v13, 0 :: v_dual_mov_b32 v14, s1
	global_atomic_add_u32 v13, v13, v14, s[10:11] th:TH_ATOMIC_RETURN scope:SCOPE_DEV
.LBB0_8:
	s_wait_alu 0xfffe
	s_or_b32 exec_lo, exec_lo, s0
	v_subrev_f32_e32 v2, s30, v2
	s_wait_loadcnt 0x0
	v_readfirstlane_b32 s0, v13
	s_delay_alu instid0(VALU_DEP_2) | instskip(SKIP_1) | instid1(VALU_DEP_2)
	v_div_scale_f32 v14, null, 0x40490fdb, 0x40490fdb, v2
	s_wait_alu 0xf1ff
	v_add_nc_u32_e32 v12, s0, v12
	s_delay_alu instid0(VALU_DEP_2) | instskip(NEXT) | instid1(TRANS32_DEP_1)
	v_rcp_f32_e32 v15, v14
	v_fma_f32 v16, -v14, v15, 1.0
	s_delay_alu instid0(VALU_DEP_1) | instskip(SKIP_1) | instid1(VALU_DEP_1)
	v_fmac_f32_e32 v15, v16, v15
	v_div_scale_f32 v17, vcc_lo, v2, 0x40490fdb, v2
	v_mul_f32_e32 v16, v17, v15
	s_delay_alu instid0(VALU_DEP_1) | instskip(NEXT) | instid1(VALU_DEP_1)
	v_fma_f32 v18, -v14, v16, v17
	v_fmac_f32_e32 v16, v18, v15
	s_delay_alu instid0(VALU_DEP_1) | instskip(SKIP_2) | instid1(VALU_DEP_2)
	v_fma_f32 v13, -v14, v16, v17
	v_lshl_add_u32 v14, v12, 3, v12
	s_wait_alu 0xfffd
	v_div_fmas_f32 v13, v13, v15, v16
	s_delay_alu instid0(VALU_DEP_2) | instskip(SKIP_1) | instid1(VALU_DEP_3)
	v_ashrrev_i32_e32 v15, 31, v14
	v_cmp_ngt_f32_e32 vcc_lo, v9, v10
	v_div_fixup_f32 v13, v13, 0x40490fdb, v2
	s_delay_alu instid0(VALU_DEP_3) | instskip(SKIP_2) | instid1(VALU_DEP_3)
	v_lshlrev_b64_e32 v[14:15], 2, v[14:15]
	s_wait_alu 0xfffd
	v_cndmask_b32_e64 v10, 0, 1.0, vcc_lo
	v_floor_f32_e32 v16, v13
	v_ashrrev_i32_e32 v13, 31, v12
	s_delay_alu instid0(VALU_DEP_2) | instskip(SKIP_1) | instid1(VALU_DEP_3)
	v_fmamk_f32 v2, v16, 0xc0490fdb, v2
	v_cvt_f32_i32_e32 v16, v8
	v_lshlrev_b64_e32 v[8:9], 2, v[12:13]
	v_add_co_u32 v12, vcc_lo, s6, v14
	s_delay_alu instid0(VALU_DEP_4) | instskip(SKIP_2) | instid1(VALU_DEP_4)
	v_add_f32_e32 v2, s30, v2
	s_wait_alu 0xfffd
	v_add_co_ci_u32_e64 v13, null, s7, v15, vcc_lo
	v_add_co_u32 v8, vcc_lo, s8, v8
	s_delay_alu instid0(VALU_DEP_3)
	v_fmac_f32_e32 v2, 0x40490fdb, v10
	s_wait_alu 0xfffd
	v_add_co_ci_u32_e64 v9, null, s9, v9, vcc_lo
	s_clause 0x2
	global_store_b32 v[12:13], v16, off offset:32
	global_store_b128 v[12:13], v[4:7], off
	global_store_b128 v[12:13], v[0:3], off offset:16
	global_store_b32 v[8:9], v11, off
.LBB0_9:
	s_endpgm
	.section	.rodata,"a",@progbits
	.p2align	6, 0x0
	.amdhsa_kernel _Z11postprocessPKfPfS0_S0_S0_S1_S1_Piffffiiiiiff
		.amdhsa_group_segment_fixed_size 0
		.amdhsa_private_segment_fixed_size 0
		.amdhsa_kernarg_size 108
		.amdhsa_user_sgpr_count 2
		.amdhsa_user_sgpr_dispatch_ptr 0
		.amdhsa_user_sgpr_queue_ptr 0
		.amdhsa_user_sgpr_kernarg_segment_ptr 1
		.amdhsa_user_sgpr_dispatch_id 0
		.amdhsa_user_sgpr_private_segment_size 0
		.amdhsa_wavefront_size32 1
		.amdhsa_uses_dynamic_stack 0
		.amdhsa_enable_private_segment 0
		.amdhsa_system_sgpr_workgroup_id_x 1
		.amdhsa_system_sgpr_workgroup_id_y 0
		.amdhsa_system_sgpr_workgroup_id_z 0
		.amdhsa_system_sgpr_workgroup_info 0
		.amdhsa_system_vgpr_workitem_id 0
		.amdhsa_next_free_vgpr 34
		.amdhsa_next_free_sgpr 31
		.amdhsa_reserve_vcc 1
		.amdhsa_float_round_mode_32 0
		.amdhsa_float_round_mode_16_64 0
		.amdhsa_float_denorm_mode_32 3
		.amdhsa_float_denorm_mode_16_64 3
		.amdhsa_fp16_overflow 0
		.amdhsa_workgroup_processor_mode 1
		.amdhsa_memory_ordered 1
		.amdhsa_forward_progress 1
		.amdhsa_inst_pref_size 18
		.amdhsa_round_robin_scheduling 0
		.amdhsa_exception_fp_ieee_invalid_op 0
		.amdhsa_exception_fp_denorm_src 0
		.amdhsa_exception_fp_ieee_div_zero 0
		.amdhsa_exception_fp_ieee_overflow 0
		.amdhsa_exception_fp_ieee_underflow 0
		.amdhsa_exception_fp_ieee_inexact 0
		.amdhsa_exception_int_div_zero 0
	.end_amdhsa_kernel
	.text
.Lfunc_end0:
	.size	_Z11postprocessPKfPfS0_S0_S0_S1_S1_Piffffiiiiiff, .Lfunc_end0-_Z11postprocessPKfPfS0_S0_S0_S1_S1_Piffffiiiiiff
                                        ; -- End function
	.set _Z11postprocessPKfPfS0_S0_S0_S1_S1_Piffffiiiiiff.num_vgpr, 34
	.set _Z11postprocessPKfPfS0_S0_S0_S1_S1_Piffffiiiiiff.num_agpr, 0
	.set _Z11postprocessPKfPfS0_S0_S0_S1_S1_Piffffiiiiiff.numbered_sgpr, 31
	.set _Z11postprocessPKfPfS0_S0_S0_S1_S1_Piffffiiiiiff.num_named_barrier, 0
	.set _Z11postprocessPKfPfS0_S0_S0_S1_S1_Piffffiiiiiff.private_seg_size, 0
	.set _Z11postprocessPKfPfS0_S0_S0_S1_S1_Piffffiiiiiff.uses_vcc, 1
	.set _Z11postprocessPKfPfS0_S0_S0_S1_S1_Piffffiiiiiff.uses_flat_scratch, 0
	.set _Z11postprocessPKfPfS0_S0_S0_S1_S1_Piffffiiiiiff.has_dyn_sized_stack, 0
	.set _Z11postprocessPKfPfS0_S0_S0_S1_S1_Piffffiiiiiff.has_recursion, 0
	.set _Z11postprocessPKfPfS0_S0_S0_S1_S1_Piffffiiiiiff.has_indirect_call, 0
	.section	.AMDGPU.csdata,"",@progbits
; Kernel info:
; codeLenInByte = 2228
; TotalNumSgprs: 33
; NumVgprs: 34
; ScratchSize: 0
; MemoryBound: 0
; FloatMode: 240
; IeeeMode: 1
; LDSByteSize: 0 bytes/workgroup (compile time only)
; SGPRBlocks: 0
; VGPRBlocks: 4
; NumSGPRsForWavesPerEU: 33
; NumVGPRsForWavesPerEU: 34
; Occupancy: 16
; WaveLimiterHint : 0
; COMPUTE_PGM_RSRC2:SCRATCH_EN: 0
; COMPUTE_PGM_RSRC2:USER_SGPR: 2
; COMPUTE_PGM_RSRC2:TRAP_HANDLER: 0
; COMPUTE_PGM_RSRC2:TGID_X_EN: 1
; COMPUTE_PGM_RSRC2:TGID_Y_EN: 0
; COMPUTE_PGM_RSRC2:TGID_Z_EN: 0
; COMPUTE_PGM_RSRC2:TIDIG_COMP_CNT: 0
	.text
	.p2alignl 7, 3214868480
	.fill 96, 4, 3214868480
	.section	.AMDGPU.gpr_maximums,"",@progbits
	.set amdgpu.max_num_vgpr, 0
	.set amdgpu.max_num_agpr, 0
	.set amdgpu.max_num_sgpr, 0
	.text
	.type	__hip_cuid_3c6e02792f64ce5e,@object ; @__hip_cuid_3c6e02792f64ce5e
	.section	.bss,"aw",@nobits
	.globl	__hip_cuid_3c6e02792f64ce5e
__hip_cuid_3c6e02792f64ce5e:
	.byte	0                               ; 0x0
	.size	__hip_cuid_3c6e02792f64ce5e, 1

	.ident	"AMD clang version 22.0.0git (https://github.com/RadeonOpenCompute/llvm-project roc-7.2.4 26084 f58b06dce1f9c15707c5f808fd002e18c2accf7e)"
	.section	".note.GNU-stack","",@progbits
	.addrsig
	.addrsig_sym __hip_cuid_3c6e02792f64ce5e
	.amdgpu_metadata
---
amdhsa.kernels:
  - .args:
      - .actual_access:  read_only
        .address_space:  global
        .offset:         0
        .size:           8
        .value_kind:     global_buffer
      - .address_space:  global
        .offset:         8
        .size:           8
        .value_kind:     global_buffer
      - .actual_access:  read_only
        .address_space:  global
        .offset:         16
        .size:           8
        .value_kind:     global_buffer
      - .actual_access:  read_only
        .address_space:  global
        .offset:         24
        .size:           8
        .value_kind:     global_buffer
      - .actual_access:  read_only
        .address_space:  global
        .offset:         32
        .size:           8
        .value_kind:     global_buffer
      - .actual_access:  write_only
        .address_space:  global
        .offset:         40
        .size:           8
        .value_kind:     global_buffer
      - .actual_access:  write_only
        .address_space:  global
        .offset:         48
        .size:           8
        .value_kind:     global_buffer
      - .address_space:  global
        .offset:         56
        .size:           8
        .value_kind:     global_buffer
      - .offset:         64
        .size:           4
        .value_kind:     by_value
      - .offset:         68
        .size:           4
        .value_kind:     by_value
      - .offset:         72
        .size:           4
        .value_kind:     by_value
      - .offset:         76
        .size:           4
        .value_kind:     by_value
      - .offset:         80
        .size:           4
        .value_kind:     by_value
      - .offset:         84
        .size:           4
        .value_kind:     by_value
      - .offset:         88
        .size:           4
        .value_kind:     by_value
      - .offset:         92
        .size:           4
        .value_kind:     by_value
      - .offset:         96
        .size:           4
        .value_kind:     by_value
      - .offset:         100
        .size:           4
        .value_kind:     by_value
      - .offset:         104
        .size:           4
        .value_kind:     by_value
    .group_segment_fixed_size: 0
    .kernarg_segment_align: 8
    .kernarg_segment_size: 108
    .language:       OpenCL C
    .language_version:
      - 2
      - 0
    .max_flat_workgroup_size: 1024
    .name:           _Z11postprocessPKfPfS0_S0_S0_S1_S1_Piffffiiiiiff
    .private_segment_fixed_size: 0
    .sgpr_count:     33
    .sgpr_spill_count: 0
    .symbol:         _Z11postprocessPKfPfS0_S0_S0_S1_S1_Piffffiiiiiff.kd
    .uniform_work_group_size: 1
    .uses_dynamic_stack: false
    .vgpr_count:     34
    .vgpr_spill_count: 0
    .wavefront_size: 32
    .workgroup_processor_mode: 1
amdhsa.target:   amdgcn-amd-amdhsa--gfx1201
amdhsa.version:
  - 1
  - 2
...

	.end_amdgpu_metadata
